;; amdgpu-corpus repo=ROCm/rocFFT kind=compiled arch=gfx950 opt=O3
	.text
	.amdgcn_target "amdgcn-amd-amdhsa--gfx950"
	.amdhsa_code_object_version 6
	.protected	fft_rtc_back_len260_factors_13_10_2_wgs_52_tpt_26_sp_op_CI_CI_unitstride_sbrr_C2R_dirReg ; -- Begin function fft_rtc_back_len260_factors_13_10_2_wgs_52_tpt_26_sp_op_CI_CI_unitstride_sbrr_C2R_dirReg
	.globl	fft_rtc_back_len260_factors_13_10_2_wgs_52_tpt_26_sp_op_CI_CI_unitstride_sbrr_C2R_dirReg
	.p2align	8
	.type	fft_rtc_back_len260_factors_13_10_2_wgs_52_tpt_26_sp_op_CI_CI_unitstride_sbrr_C2R_dirReg,@function
fft_rtc_back_len260_factors_13_10_2_wgs_52_tpt_26_sp_op_CI_CI_unitstride_sbrr_C2R_dirReg: ; @fft_rtc_back_len260_factors_13_10_2_wgs_52_tpt_26_sp_op_CI_CI_unitstride_sbrr_C2R_dirReg
; %bb.0:
	s_load_dwordx4 s[4:7], s[0:1], 0x58
	s_load_dwordx4 s[8:11], s[0:1], 0x0
	;; [unrolled: 1-line block ×3, first 2 shown]
	v_mul_u32_u24_e32 v1, 0x9d9, v0
	v_lshrrev_b32_e32 v1, 16, v1
	v_lshl_add_u32 v6, s2, 1, v1
	v_mov_b32_e32 v4, 0
	s_waitcnt lgkmcnt(0)
	v_cmp_lt_u64_e64 s[2:3], s[10:11], 2
	v_mov_b32_e32 v7, v4
	s_and_b64 vcc, exec, s[2:3]
	v_mov_b64_e32 v[2:3], 0
	s_cbranch_vccnz .LBB0_8
; %bb.1:
	s_load_dwordx2 s[2:3], s[0:1], 0x10
	s_add_u32 s16, s14, 8
	s_addc_u32 s17, s15, 0
	s_add_u32 s18, s12, 8
	s_addc_u32 s19, s13, 0
	s_waitcnt lgkmcnt(0)
	s_add_u32 s20, s2, 8
	v_mov_b64_e32 v[2:3], 0
	s_addc_u32 s21, s3, 0
	s_mov_b64 s[22:23], 1
	v_mov_b64_e32 v[24:25], v[2:3]
.LBB0_2:                                ; =>This Inner Loop Header: Depth=1
	s_load_dwordx2 s[24:25], s[20:21], 0x0
                                        ; implicit-def: $vgpr26_vgpr27
	s_waitcnt lgkmcnt(0)
	v_or_b32_e32 v5, s25, v7
	v_cmp_ne_u64_e32 vcc, 0, v[4:5]
	s_and_saveexec_b64 s[2:3], vcc
	s_xor_b64 s[26:27], exec, s[2:3]
	s_cbranch_execz .LBB0_4
; %bb.3:                                ;   in Loop: Header=BB0_2 Depth=1
	v_cvt_f32_u32_e32 v5, s24
	v_cvt_f32_u32_e32 v8, s25
	s_sub_u32 s2, 0, s24
	s_subb_u32 s3, 0, s25
	v_fmac_f32_e32 v5, 0x4f800000, v8
	v_rcp_f32_e32 v5, v5
	s_nop 0
	v_mul_f32_e32 v5, 0x5f7ffffc, v5
	v_mul_f32_e32 v8, 0x2f800000, v5
	v_trunc_f32_e32 v8, v8
	v_fmac_f32_e32 v5, 0xcf800000, v8
	v_cvt_u32_f32_e32 v12, v8
	v_cvt_u32_f32_e32 v5, v5
	v_mul_lo_u32 v8, s2, v12
	v_mul_hi_u32 v10, s2, v5
	v_mul_lo_u32 v9, s3, v5
	v_add_u32_e32 v10, v10, v8
	v_mul_lo_u32 v13, s2, v5
	v_add_u32_e32 v14, v10, v9
	v_mul_hi_u32 v8, v5, v13
	v_mul_hi_u32 v11, v5, v14
	v_mul_lo_u32 v10, v5, v14
	v_mov_b32_e32 v9, v4
	v_lshl_add_u64 v[8:9], v[8:9], 0, v[10:11]
	v_mul_hi_u32 v11, v12, v13
	v_mul_lo_u32 v13, v12, v13
	v_add_co_u32_e32 v8, vcc, v8, v13
	v_mul_hi_u32 v10, v12, v14
	s_nop 0
	v_addc_co_u32_e32 v8, vcc, v9, v11, vcc
	v_mov_b32_e32 v9, v4
	s_nop 0
	v_addc_co_u32_e32 v11, vcc, 0, v10, vcc
	v_mul_lo_u32 v10, v12, v14
	v_lshl_add_u64 v[8:9], v[8:9], 0, v[10:11]
	v_add_co_u32_e32 v5, vcc, v5, v8
	v_mul_lo_u32 v10, s2, v5
	s_nop 0
	v_addc_co_u32_e32 v12, vcc, v12, v9, vcc
	v_mul_lo_u32 v8, s2, v12
	v_mul_hi_u32 v9, s2, v5
	v_add_u32_e32 v8, v9, v8
	v_mul_lo_u32 v9, s3, v5
	v_add_u32_e32 v13, v8, v9
	v_mul_hi_u32 v15, v12, v10
	v_mul_lo_u32 v16, v12, v10
	v_mul_hi_u32 v9, v5, v13
	v_mul_lo_u32 v8, v5, v13
	v_mul_hi_u32 v10, v5, v10
	v_mov_b32_e32 v11, v4
	v_lshl_add_u64 v[8:9], v[10:11], 0, v[8:9]
	v_add_co_u32_e32 v8, vcc, v8, v16
	v_mul_hi_u32 v14, v12, v13
	s_nop 0
	v_addc_co_u32_e32 v8, vcc, v9, v15, vcc
	v_mul_lo_u32 v10, v12, v13
	s_nop 0
	v_addc_co_u32_e32 v11, vcc, 0, v14, vcc
	v_mov_b32_e32 v9, v4
	v_lshl_add_u64 v[8:9], v[8:9], 0, v[10:11]
	v_add_co_u32_e32 v5, vcc, v5, v8
	v_mul_hi_u32 v10, v6, v5
	s_nop 0
	v_addc_co_u32_e32 v12, vcc, v12, v9, vcc
	v_mad_u64_u32 v[8:9], s[2:3], v6, v12, 0
	v_mov_b32_e32 v11, v4
	v_lshl_add_u64 v[8:9], v[10:11], 0, v[8:9]
	v_mad_u64_u32 v[10:11], s[2:3], v7, v12, 0
	v_mad_u64_u32 v[12:13], s[2:3], v7, v5, 0
	v_add_co_u32_e32 v5, vcc, v8, v12
	s_nop 1
	v_addc_co_u32_e32 v8, vcc, v9, v13, vcc
	v_mov_b32_e32 v9, v4
	s_nop 0
	v_addc_co_u32_e32 v11, vcc, 0, v11, vcc
	v_lshl_add_u64 v[8:9], v[8:9], 0, v[10:11]
	v_mul_lo_u32 v5, s25, v8
	v_mul_lo_u32 v12, s24, v9
	v_mad_u64_u32 v[10:11], s[2:3], s24, v8, 0
	v_add3_u32 v5, v11, v12, v5
	v_sub_u32_e32 v11, v7, v5
	v_mov_b32_e32 v12, s25
	v_sub_co_u32_e32 v14, vcc, v6, v10
	s_nop 1
	v_subb_co_u32_e64 v10, s[2:3], v11, v12, vcc
	v_subrev_co_u32_e64 v11, s[2:3], s24, v14
	v_subb_co_u32_e32 v5, vcc, v7, v5, vcc
	s_nop 0
	v_subbrev_co_u32_e64 v10, s[2:3], 0, v10, s[2:3]
	v_cmp_le_u32_e64 s[2:3], s25, v10
	v_cmp_le_u32_e32 vcc, s25, v5
	s_nop 0
	v_cndmask_b32_e64 v12, 0, -1, s[2:3]
	v_cmp_le_u32_e64 s[2:3], s24, v11
	s_nop 1
	v_cndmask_b32_e64 v11, 0, -1, s[2:3]
	v_cmp_eq_u32_e64 s[2:3], s25, v10
	s_nop 1
	v_cndmask_b32_e64 v15, v12, v11, s[2:3]
	v_lshl_add_u64 v[10:11], v[8:9], 0, 2
	v_lshl_add_u64 v[12:13], v[8:9], 0, 1
	v_cmp_ne_u32_e64 s[2:3], 0, v15
	s_nop 1
	v_cndmask_b32_e64 v11, v13, v11, s[2:3]
	v_cndmask_b32_e64 v13, 0, -1, vcc
	v_cmp_le_u32_e32 vcc, s24, v14
	s_nop 1
	v_cndmask_b32_e64 v14, 0, -1, vcc
	v_cmp_eq_u32_e32 vcc, s25, v5
	s_nop 1
	v_cndmask_b32_e32 v5, v13, v14, vcc
	v_cmp_ne_u32_e32 vcc, 0, v5
	v_cndmask_b32_e64 v5, v12, v10, s[2:3]
	s_nop 0
	v_cndmask_b32_e32 v27, v9, v11, vcc
	v_cndmask_b32_e32 v26, v8, v5, vcc
.LBB0_4:                                ;   in Loop: Header=BB0_2 Depth=1
	s_andn2_saveexec_b64 s[2:3], s[26:27]
	s_cbranch_execz .LBB0_6
; %bb.5:                                ;   in Loop: Header=BB0_2 Depth=1
	v_cvt_f32_u32_e32 v5, s24
	s_sub_i32 s26, 0, s24
	v_mov_b32_e32 v27, v4
	v_rcp_iflag_f32_e32 v5, v5
	s_nop 0
	v_mul_f32_e32 v5, 0x4f7ffffe, v5
	v_cvt_u32_f32_e32 v5, v5
	v_mul_lo_u32 v8, s26, v5
	v_mul_hi_u32 v8, v5, v8
	v_add_u32_e32 v5, v5, v8
	v_mul_hi_u32 v5, v6, v5
	v_mul_lo_u32 v8, v5, s24
	v_sub_u32_e32 v8, v6, v8
	v_add_u32_e32 v9, 1, v5
	v_subrev_u32_e32 v10, s24, v8
	v_cmp_le_u32_e32 vcc, s24, v8
	s_nop 1
	v_cndmask_b32_e32 v8, v8, v10, vcc
	v_cndmask_b32_e32 v5, v5, v9, vcc
	v_add_u32_e32 v9, 1, v5
	v_cmp_le_u32_e32 vcc, s24, v8
	s_nop 1
	v_cndmask_b32_e32 v26, v5, v9, vcc
.LBB0_6:                                ;   in Loop: Header=BB0_2 Depth=1
	s_or_b64 exec, exec, s[2:3]
	v_mad_u64_u32 v[8:9], s[2:3], v26, s24, 0
	s_load_dwordx2 s[2:3], s[18:19], 0x0
	v_mul_lo_u32 v5, v27, s24
	v_mul_lo_u32 v10, v26, s25
	s_load_dwordx2 s[24:25], s[16:17], 0x0
	s_add_u32 s22, s22, 1
	v_add3_u32 v5, v9, v10, v5
	v_sub_co_u32_e32 v6, vcc, v6, v8
	s_addc_u32 s23, s23, 0
	s_nop 0
	v_subb_co_u32_e32 v5, vcc, v7, v5, vcc
	s_add_u32 s16, s16, 8
	s_waitcnt lgkmcnt(0)
	v_mul_lo_u32 v7, s2, v5
	v_mul_lo_u32 v8, s3, v6
	v_mad_u64_u32 v[2:3], s[2:3], s2, v6, v[2:3]
	s_addc_u32 s17, s17, 0
	v_add3_u32 v3, v8, v3, v7
	v_mul_lo_u32 v5, s24, v5
	v_mul_lo_u32 v7, s25, v6
	v_mad_u64_u32 v[24:25], s[2:3], s24, v6, v[24:25]
	s_add_u32 s18, s18, 8
	v_add3_u32 v25, v7, v25, v5
	s_addc_u32 s19, s19, 0
	v_mov_b64_e32 v[6:7], s[10:11]
	s_add_u32 s20, s20, 8
	v_cmp_ge_u64_e32 vcc, s[22:23], v[6:7]
	s_addc_u32 s21, s21, 0
	s_cbranch_vccnz .LBB0_9
; %bb.7:                                ;   in Loop: Header=BB0_2 Depth=1
	v_mov_b64_e32 v[6:7], v[26:27]
	s_branch .LBB0_2
.LBB0_8:
	v_mov_b64_e32 v[24:25], v[2:3]
	v_mov_b64_e32 v[26:27], v[6:7]
.LBB0_9:
	s_load_dwordx2 s[2:3], s[0:1], 0x28
	s_lshl_b64 s[16:17], s[10:11], 3
	s_add_u32 s14, s14, s16
	v_and_b32_e32 v1, 1, v1
	s_addc_u32 s15, s15, s17
	v_cmp_eq_u32_e64 s[0:1], 1, v1
	v_mov_b32_e32 v1, 0x105
	s_waitcnt lgkmcnt(0)
	v_cmp_gt_u64_e32 vcc, s[2:3], v[26:27]
	v_cmp_le_u64_e64 s[2:3], s[2:3], v[26:27]
                                        ; implicit-def: $vgpr28
                                        ; implicit-def: $vgpr4_vgpr5
	s_and_saveexec_b64 s[10:11], s[2:3]
	s_xor_b64 s[2:3], exec, s[10:11]
; %bb.10:
	s_mov_b32 s10, 0x9d89d8a
	v_mul_hi_u32 v2, v0, s10
	v_mul_u32_u24_e32 v2, 26, v2
	v_sub_u32_e32 v28, v0, v2
	v_mov_b32_e32 v29, 0
	v_mov_b64_e32 v[4:5], v[28:29]
                                        ; implicit-def: $vgpr0
                                        ; implicit-def: $vgpr2_vgpr3
; %bb.11:
	s_or_saveexec_b64 s[10:11], s[2:3]
	s_load_dwordx2 s[2:3], s[14:15], 0x0
	v_cndmask_b32_e64 v6, 0, v1, s[0:1]
	v_lshlrev_b32_e32 v80, 3, v6
	s_xor_b64 exec, exec, s[10:11]
	s_cbranch_execz .LBB0_15
; %bb.12:
	s_add_u32 s0, s12, s16
	s_addc_u32 s1, s13, s17
	s_load_dwordx2 s[0:1], s[0:1], 0x0
	s_mov_b32 s12, 0x9d89d8a
	v_mov_b32_e32 v29, 0
	s_waitcnt lgkmcnt(0)
	v_mul_lo_u32 v1, s1, v26
	v_mul_lo_u32 v7, s0, v27
	v_mad_u64_u32 v[4:5], s[0:1], s0, v26, 0
	v_add3_u32 v5, v5, v7, v1
	v_mul_hi_u32 v1, v0, s12
	v_mul_u32_u24_e32 v1, 26, v1
	v_sub_u32_e32 v28, v0, v1
	v_lshl_add_u64 v[0:1], v[4:5], 3, s[4:5]
	v_lshl_add_u64 v[0:1], v[2:3], 3, v[0:1]
	v_lshlrev_b32_e32 v2, 3, v28
	v_mov_b32_e32 v3, v29
	v_lshl_add_u64 v[4:5], v[0:1], 0, v[2:3]
	global_load_dwordx2 v[8:9], v[4:5], off
	global_load_dwordx2 v[10:11], v[4:5], off offset:208
	global_load_dwordx2 v[12:13], v[4:5], off offset:416
	;; [unrolled: 1-line block ×9, first 2 shown]
	v_cmp_eq_u32_e64 s[0:1], 25, v28
	v_add3_u32 v2, 0, v80, v2
	v_mov_b64_e32 v[4:5], v[28:29]
	s_waitcnt vmcnt(8)
	ds_write2_b64 v2, v[8:9], v[10:11] offset1:26
	s_waitcnt vmcnt(6)
	ds_write2_b64 v2, v[12:13], v[14:15] offset0:52 offset1:78
	s_waitcnt vmcnt(4)
	ds_write2_b64 v2, v[16:17], v[18:19] offset0:104 offset1:130
	;; [unrolled: 2-line block ×4, first 2 shown]
	s_and_saveexec_b64 s[4:5], s[0:1]
	s_cbranch_execz .LBB0_14
; %bb.13:
	global_load_dwordx2 v[0:1], v[0:1], off offset:2080
	v_mov_b32_e32 v28, 25
	v_mov_b64_e32 v[4:5], 25
	s_waitcnt vmcnt(0)
	ds_write_b64 v2, v[0:1] offset:1880
.LBB0_14:
	s_or_b64 exec, exec, s[4:5]
.LBB0_15:
	s_or_b64 exec, exec, s[10:11]
	v_lshl_add_u32 v81, v6, 3, 0
	v_lshlrev_b32_e32 v0, 3, v28
	v_add_u32_e32 v82, v81, v0
	s_waitcnt lgkmcnt(0)
	; wave barrier
	s_waitcnt lgkmcnt(0)
	v_sub_u32_e32 v2, v81, v0
	ds_read_b32 v1, v82
	ds_read_b32 v3, v2 offset:2080
	v_cmp_ne_u32_e64 s[0:1], 0, v28
	v_lshl_add_u64 v[30:31], v[4:5], 3, s[8:9]
	s_waitcnt lgkmcnt(0)
	v_add_f32_e32 v0, v3, v1
	v_sub_f32_e32 v1, v1, v3
	s_and_saveexec_b64 s[4:5], s[0:1]
	s_xor_b64 s[0:1], exec, s[4:5]
	s_cbranch_execz .LBB0_17
; %bb.16:
	global_load_dwordx2 v[4:5], v[30:31], off offset:1976
	ds_read_b32 v3, v2 offset:2084
	ds_read_b32 v7, v82 offset:4
	v_mov_b32_e32 v10, v1
	v_mov_b32_e32 v9, v1
	s_waitcnt lgkmcnt(0)
	v_add_f32_e32 v8, v3, v7
	v_sub_f32_e32 v3, v7, v3
	v_mov_b32_e32 v11, v8
	v_mov_b32_e32 v1, v3
	s_waitcnt vmcnt(0)
	v_pk_mul_f32 v[12:13], v[10:11], v[4:5] op_sel:[0,1]
	v_pk_fma_f32 v[10:11], v[10:11], v[4:5], v[0:1] op_sel:[0,1,0]
	v_mov_b32_e32 v1, v13
	v_mov_b32_e32 v13, v3
	v_pk_fma_f32 v[14:15], v[4:5], v[8:9], v[10:11] neg_lo:[1,0,0] neg_hi:[1,0,0]
	v_pk_fma_f32 v[10:11], v[4:5], v[8:9], v[10:11] op_sel_hi:[0,1,1]
	v_pk_add_f32 v[0:1], v[0:1], v[12:13] neg_lo:[0,1] neg_hi:[0,1]
	v_mov_b32_e32 v15, v11
	v_pk_fma_f32 v[0:1], v[4:5], v[8:9], v[0:1] op_sel_hi:[0,1,1]
	ds_write_b64 v82, v[14:15]
	ds_write_b64 v2, v[0:1] offset:2080
                                        ; implicit-def: $vgpr0
.LBB0_17:
	s_andn2_saveexec_b64 s[0:1], s[0:1]
	s_cbranch_execz .LBB0_19
; %bb.18:
	ds_write_b64 v82, v[0:1]
	ds_read_b64 v[0:1], v81 offset:1040
	s_mov_b32 s4, 2.0
	s_mov_b32 s5, -2.0
	s_waitcnt lgkmcnt(0)
	v_pk_mul_f32 v[0:1], v[0:1], s[4:5]
	ds_write_b64 v81, v[0:1] offset:1040
.LBB0_19:
	s_or_b64 exec, exec, s[0:1]
	s_add_u32 s0, s8, 0x7b8
	s_addc_u32 s1, s9, 0
	v_mov_b32_e32 v29, 0
	v_lshl_add_u64 v[0:1], v[28:29], 3, s[0:1]
	global_load_dwordx2 v[4:5], v[0:1], off offset:208
	global_load_dwordx2 v[8:9], v[0:1], off offset:416
	;; [unrolled: 1-line block ×4, first 2 shown]
	ds_read_b64 v[0:1], v2 offset:1872
	ds_read_b64 v[14:15], v82 offset:208
	v_lshl_add_u32 v84, v28, 3, 0
	v_lshl_add_u32 v83, v6, 3, v84
	v_cmp_gt_u32_e64 s[0:1], 20, v28
	s_waitcnt lgkmcnt(0)
	v_pk_add_f32 v[16:17], v[14:15], v[0:1]
	v_pk_add_f32 v[0:1], v[14:15], v[0:1] neg_lo:[0,1] neg_hi:[0,1]
	v_mov_b32_e32 v14, v17
	v_mov_b32_e32 v15, v0
	v_mov_b32_e32 v17, v1
	s_waitcnt vmcnt(3)
	v_pk_mul_f32 v[18:19], v[14:15], v[4:5] op_sel:[0,1]
	s_nop 0
	v_pk_add_f32 v[20:21], v[16:17], v[18:19] op_sel:[0,1] op_sel_hi:[1,0]
	v_mov_b32_e32 v17, v18
	v_mov_b32_e32 v0, v19
	v_pk_fma_f32 v[18:19], v[4:5], v[14:15], v[20:21] neg_lo:[1,0,0] neg_hi:[1,0,0]
	v_pk_fma_f32 v[20:21], v[4:5], v[14:15], v[20:21] op_sel_hi:[0,1,1]
	v_pk_add_f32 v[0:1], v[16:17], v[0:1] neg_lo:[0,1] neg_hi:[0,1]
	v_mov_b32_e32 v19, v21
	v_pk_fma_f32 v[0:1], v[4:5], v[14:15], v[0:1] op_sel_hi:[0,1,1]
	ds_write_b64 v82, v[18:19] offset:208
	ds_write_b64 v2, v[0:1] offset:1872
	ds_read_b64 v[0:1], v2 offset:1664
	ds_read_b64 v[4:5], v82 offset:416
	s_waitcnt lgkmcnt(0)
	v_pk_add_f32 v[14:15], v[4:5], v[0:1]
	v_pk_add_f32 v[0:1], v[4:5], v[0:1] neg_lo:[0,1] neg_hi:[0,1]
	v_mov_b32_e32 v4, v15
	v_mov_b32_e32 v5, v0
	v_mov_b32_e32 v15, v1
	s_waitcnt vmcnt(2)
	v_pk_mul_f32 v[16:17], v[4:5], v[8:9] op_sel:[0,1]
	s_nop 0
	v_pk_add_f32 v[18:19], v[14:15], v[16:17] op_sel:[0,1] op_sel_hi:[1,0]
	v_mov_b32_e32 v15, v16
	v_mov_b32_e32 v0, v17
	v_pk_fma_f32 v[16:17], v[8:9], v[4:5], v[18:19] neg_lo:[1,0,0] neg_hi:[1,0,0]
	v_pk_fma_f32 v[18:19], v[8:9], v[4:5], v[18:19] op_sel_hi:[0,1,1]
	v_pk_add_f32 v[0:1], v[14:15], v[0:1] neg_lo:[0,1] neg_hi:[0,1]
	v_mov_b32_e32 v17, v19
	v_pk_fma_f32 v[0:1], v[8:9], v[4:5], v[0:1] op_sel_hi:[0,1,1]
	ds_write_b64 v82, v[16:17] offset:416
	ds_write_b64 v2, v[0:1] offset:1664
	ds_read_b64 v[0:1], v2 offset:1456
	ds_read_b64 v[4:5], v82 offset:624
	;; [unrolled: 21-line block ×3, first 2 shown]
	s_waitcnt lgkmcnt(0)
	v_pk_add_f32 v[6:7], v[4:5], v[0:1]
	v_pk_add_f32 v[0:1], v[4:5], v[0:1] neg_lo:[0,1] neg_hi:[0,1]
	v_mov_b32_e32 v4, v7
	v_mov_b32_e32 v5, v0
	;; [unrolled: 1-line block ×3, first 2 shown]
	s_waitcnt vmcnt(0)
	v_pk_mul_f32 v[8:9], v[4:5], v[12:13] op_sel:[0,1]
	s_nop 0
	v_pk_add_f32 v[10:11], v[6:7], v[8:9] op_sel:[0,1] op_sel_hi:[1,0]
	v_mov_b32_e32 v7, v8
	v_mov_b32_e32 v0, v9
	v_pk_fma_f32 v[8:9], v[12:13], v[4:5], v[10:11] neg_lo:[1,0,0] neg_hi:[1,0,0]
	v_pk_fma_f32 v[10:11], v[12:13], v[4:5], v[10:11] op_sel_hi:[0,1,1]
	v_pk_add_f32 v[0:1], v[6:7], v[0:1] neg_lo:[0,1] neg_hi:[0,1]
	v_mov_b32_e32 v9, v11
	v_pk_fma_f32 v[0:1], v[12:13], v[4:5], v[0:1] op_sel_hi:[0,1,1]
	ds_write_b64 v82, v[8:9] offset:832
	ds_write_b64 v2, v[0:1] offset:1248
	s_waitcnt lgkmcnt(0)
	; wave barrier
	s_waitcnt lgkmcnt(0)
	s_waitcnt lgkmcnt(0)
	; wave barrier
	s_waitcnt lgkmcnt(0)
	ds_read_b64 v[32:33], v82
	ds_read2_b64 v[12:15], v83 offset0:20 offset1:40
	ds_read2_b64 v[8:11], v83 offset0:60 offset1:80
	;; [unrolled: 1-line block ×6, first 2 shown]
	s_waitcnt lgkmcnt(0)
	; wave barrier
	s_waitcnt lgkmcnt(0)
	s_and_saveexec_b64 s[4:5], s[0:1]
	s_cbranch_execz .LBB0_21
; %bb.20:
	v_pk_add_f32 v[34:35], v[32:33], v[12:13]
	v_pk_add_f32 v[86:87], v[12:13], v[22:23] neg_lo:[0,1] neg_hi:[0,1]
	v_pk_add_f32 v[34:35], v[34:35], v[14:15]
	s_mov_b32 s0, 0xbeedf032
	v_pk_add_f32 v[34:35], v[34:35], v[8:9]
	v_pk_add_f32 v[78:79], v[22:23], v[12:13]
	;; [unrolled: 1-line block ×5, first 2 shown]
	v_pk_add_f32 v[60:61], v[2:3], v[4:5] neg_lo:[0,1] neg_hi:[0,1]
	v_pk_add_f32 v[34:35], v[34:35], v[2:3]
	s_mov_b32 s12, 0x3f62ad3f
	v_pk_mul_f32 v[2:3], v[86:87], s[0:1] op_sel_hi:[1,0]
	v_pk_add_f32 v[34:35], v[34:35], v[4:5]
	v_pk_add_f32 v[76:77], v[14:15], v[20:21] neg_lo:[0,1] neg_hi:[0,1]
	v_pk_add_f32 v[62:63], v[6:7], v[0:1]
	v_pk_add_f32 v[64:65], v[0:1], v[6:7] neg_lo:[0,1] neg_hi:[0,1]
	v_pk_fma_f32 v[0:1], v[78:79], s[12:13], v[2:3] op_sel:[0,0,1] op_sel_hi:[1,0,0]
	v_pk_fma_f32 v[2:3], v[78:79], s[12:13], v[2:3] op_sel:[0,0,1] op_sel_hi:[1,0,0] neg_lo:[0,0,1] neg_hi:[0,0,1]
	s_mov_b32 s22, 0xbf52af12
	v_pk_add_f32 v[34:35], v[34:35], v[6:7]
	v_pk_add_f32 v[74:75], v[20:21], v[14:15]
	v_mov_b32_e32 v4, v0
	v_mov_b32_e32 v5, v3
	s_mov_b32 s10, 0x3f116cb1
	v_pk_mul_f32 v[6:7], v[76:77], s[22:23] op_sel_hi:[1,0]
	v_pk_add_f32 v[70:71], v[18:19], v[8:9]
	v_pk_add_f32 v[72:73], v[8:9], v[18:19] neg_lo:[0,1] neg_hi:[0,1]
	v_pk_add_f32 v[8:9], v[32:33], v[4:5]
	v_pk_fma_f32 v[4:5], v[74:75], s[10:11], v[6:7] op_sel:[0,0,1] op_sel_hi:[1,0,0]
	v_pk_fma_f32 v[6:7], v[74:75], s[10:11], v[6:7] op_sel:[0,0,1] op_sel_hi:[1,0,0] neg_lo:[0,0,1] neg_hi:[0,0,1]
	v_pk_add_f32 v[66:67], v[16:17], v[10:11]
	v_pk_add_f32 v[68:69], v[10:11], v[16:17] neg_lo:[0,1] neg_hi:[0,1]
	v_mov_b32_e32 v10, v4
	v_mov_b32_e32 v11, v7
	s_mov_b32 s30, 0xbf7e222b
	v_pk_add_f32 v[12:13], v[10:11], v[8:9]
	s_mov_b32 s0, 0x3df6dbef
	v_pk_mul_f32 v[10:11], v[72:73], s[30:31] op_sel_hi:[1,0]
	s_mov_b32 s16, 0xbf6f5d39
	v_pk_fma_f32 v[8:9], v[70:71], s[0:1], v[10:11] op_sel:[0,0,1] op_sel_hi:[1,0,0]
	v_pk_fma_f32 v[10:11], v[70:71], s[0:1], v[10:11] op_sel:[0,0,1] op_sel_hi:[1,0,0] neg_lo:[0,0,1] neg_hi:[0,0,1]
	v_mov_b32_e32 v14, v8
	v_mov_b32_e32 v15, v11
	v_pk_add_f32 v[34:35], v[34:35], v[16:17]
	v_pk_add_f32 v[16:17], v[14:15], v[12:13]
	s_mov_b32 s14, 0xbeb58ec6
	v_pk_mul_f32 v[14:15], v[68:69], s[16:17] op_sel_hi:[1,0]
	v_pk_add_f32 v[34:35], v[34:35], v[18:19]
	v_pk_fma_f32 v[12:13], v[66:67], s[14:15], v[14:15] op_sel:[0,0,1] op_sel_hi:[1,0,0]
	v_pk_fma_f32 v[14:15], v[66:67], s[14:15], v[14:15] op_sel:[0,0,1] op_sel_hi:[1,0,0] neg_lo:[0,0,1] neg_hi:[0,0,1]
	v_mov_b32_e32 v18, v12
	v_mov_b32_e32 v19, v15
	s_mov_b32 s20, 0xbf29c268
	v_pk_add_f32 v[34:35], v[34:35], v[20:21]
	v_pk_add_f32 v[20:21], v[18:19], v[16:17]
	s_mov_b32 s18, 0xbf3f9e67
	v_pk_mul_f32 v[18:19], v[64:65], s[20:21] op_sel_hi:[1,0]
	v_pk_add_f32 v[34:35], v[34:35], v[22:23]
	v_pk_fma_f32 v[16:17], v[62:63], s[18:19], v[18:19] op_sel:[0,0,1] op_sel_hi:[1,0,0]
	v_pk_fma_f32 v[18:19], v[62:63], s[18:19], v[18:19] op_sel:[0,0,1] op_sel_hi:[1,0,0] neg_lo:[0,0,1] neg_hi:[0,0,1]
	v_mov_b32_e32 v22, v16
	v_mov_b32_e32 v23, v19
	s_mov_b32 s26, 0xbe750f2a
	v_pk_add_f32 v[36:37], v[22:23], v[20:21]
	s_mov_b32 s24, 0xbf788fa5
	v_pk_mul_f32 v[22:23], v[60:61], s[26:27] op_sel_hi:[1,0]
	v_mul_u32_u24_e32 v0, 0x60, v28
	v_pk_fma_f32 v[20:21], v[58:59], s[24:25], v[22:23] op_sel:[0,0,1] op_sel_hi:[1,0,0]
	v_pk_fma_f32 v[22:23], v[58:59], s[24:25], v[22:23] op_sel:[0,0,1] op_sel_hi:[1,0,0] neg_lo:[0,0,1] neg_hi:[0,0,1]
	v_mov_b32_e32 v38, v20
	v_mov_b32_e32 v39, v23
	v_pk_add_f32 v[36:37], v[38:39], v[36:37]
	v_add3_u32 v4, v84, v0, v80
	ds_write2_b64 v4, v[34:35], v[36:37] offset1:1
	v_pk_mul_f32 v[36:37], v[86:87], s[22:23] op_sel_hi:[1,0]
	v_pk_mul_f32 v[40:41], v[76:77], s[16:17] op_sel_hi:[1,0]
	v_pk_fma_f32 v[34:35], v[78:79], s[10:11], v[36:37] op_sel:[0,0,1] op_sel_hi:[1,0,0]
	v_pk_fma_f32 v[36:37], v[78:79], s[10:11], v[36:37] op_sel:[0,0,1] op_sel_hi:[1,0,0] neg_lo:[0,0,1] neg_hi:[0,0,1]
	v_mov_b32_e32 v38, v34
	v_mov_b32_e32 v39, v37
	v_pk_add_f32 v[42:43], v[32:33], v[38:39]
	v_pk_fma_f32 v[38:39], v[74:75], s[14:15], v[40:41] op_sel:[0,0,1] op_sel_hi:[1,0,0]
	v_pk_fma_f32 v[40:41], v[74:75], s[14:15], v[40:41] op_sel:[0,0,1] op_sel_hi:[1,0,0] neg_lo:[0,0,1] neg_hi:[0,0,1]
	v_mov_b32_e32 v44, v38
	v_mov_b32_e32 v45, v41
	v_pk_add_f32 v[46:47], v[44:45], v[42:43]
	v_pk_mul_f32 v[44:45], v[72:73], s[26:27] op_sel_hi:[1,0]
	s_mov_b32 s36, 0x3f29c268
	v_pk_fma_f32 v[42:43], v[70:71], s[24:25], v[44:45] op_sel:[0,0,1] op_sel_hi:[1,0,0]
	v_pk_fma_f32 v[44:45], v[70:71], s[24:25], v[44:45] op_sel:[0,0,1] op_sel_hi:[1,0,0] neg_lo:[0,0,1] neg_hi:[0,0,1]
	v_mov_b32_e32 v48, v42
	v_mov_b32_e32 v49, v45
	v_pk_add_f32 v[50:51], v[48:49], v[46:47]
	v_pk_mul_f32 v[48:49], v[68:69], s[36:37] op_sel_hi:[1,0]
	s_mov_b32 s28, 0x3f7e222b
	;; [unrolled: 7-line block ×3, first 2 shown]
	v_pk_fma_f32 v[50:51], v[62:63], s[0:1], v[52:53] op_sel:[0,0,1] op_sel_hi:[1,0,0]
	v_pk_fma_f32 v[52:53], v[62:63], s[0:1], v[52:53] op_sel:[0,0,1] op_sel_hi:[1,0,0] neg_lo:[0,0,1] neg_hi:[0,0,1]
	v_mov_b32_e32 v56, v50
	v_mov_b32_e32 v57, v53
	v_pk_add_f32 v[88:89], v[56:57], v[54:55]
	v_pk_mul_f32 v[56:57], v[60:61], s[34:35] op_sel_hi:[1,0]
	v_pk_mul_f32 v[96:97], v[76:77], s[26:27] op_sel_hi:[1,0]
	v_pk_fma_f32 v[54:55], v[58:59], s[12:13], v[56:57] op_sel:[0,0,1] op_sel_hi:[1,0,0]
	v_pk_fma_f32 v[56:57], v[58:59], s[12:13], v[56:57] op_sel:[0,0,1] op_sel_hi:[1,0,0] neg_lo:[0,0,1] neg_hi:[0,0,1]
	v_mov_b32_e32 v90, v54
	v_mov_b32_e32 v91, v57
	v_pk_add_f32 v[88:89], v[90:91], v[88:89]
	v_pk_mul_f32 v[90:91], v[86:87], s[30:31] op_sel_hi:[1,0]
	v_pk_fma_f32 v[98:99], v[74:75], s[24:25], v[96:97] op_sel:[0,0,1] op_sel_hi:[1,0,0]
	v_pk_fma_f32 v[92:93], v[78:79], s[0:1], v[90:91] op_sel:[0,0,1] op_sel_hi:[1,0,0]
	v_pk_fma_f32 v[90:91], v[78:79], s[0:1], v[90:91] op_sel:[0,0,1] op_sel_hi:[1,0,0] neg_lo:[0,0,1] neg_hi:[0,0,1]
	v_mov_b32_e32 v94, v92
	v_mov_b32_e32 v95, v91
	v_pk_fma_f32 v[96:97], v[74:75], s[24:25], v[96:97] op_sel:[0,0,1] op_sel_hi:[1,0,0] neg_lo:[0,0,1] neg_hi:[0,0,1]
	v_pk_add_f32 v[94:95], v[32:33], v[94:95]
	v_mov_b32_e32 v100, v98
	v_mov_b32_e32 v101, v97
	s_mov_b32 s38, 0x3f6f5d39
	v_pk_add_f32 v[94:95], v[100:101], v[94:95]
	v_pk_mul_f32 v[100:101], v[72:73], s[38:39] op_sel_hi:[1,0]
	v_pk_mul_f32 v[118:119], v[76:77], s[36:37] op_sel_hi:[1,0]
	v_pk_fma_f32 v[102:103], v[70:71], s[14:15], v[100:101] op_sel:[0,0,1] op_sel_hi:[1,0,0]
	v_pk_fma_f32 v[100:101], v[70:71], s[14:15], v[100:101] op_sel:[0,0,1] op_sel_hi:[1,0,0] neg_lo:[0,0,1] neg_hi:[0,0,1]
	v_mov_b32_e32 v104, v102
	v_mov_b32_e32 v105, v101
	v_pk_add_f32 v[94:95], v[104:105], v[94:95]
	v_pk_mul_f32 v[104:105], v[68:69], s[34:35] op_sel_hi:[1,0]
	v_pk_fma_f32 v[120:121], v[74:75], s[18:19], v[118:119] op_sel:[0,0,1] op_sel_hi:[1,0,0]
	v_pk_fma_f32 v[106:107], v[66:67], s[12:13], v[104:105] op_sel:[0,0,1] op_sel_hi:[1,0,0]
	v_pk_fma_f32 v[104:105], v[66:67], s[12:13], v[104:105] op_sel:[0,0,1] op_sel_hi:[1,0,0] neg_lo:[0,0,1] neg_hi:[0,0,1]
	v_mov_b32_e32 v108, v106
	v_mov_b32_e32 v109, v105
	v_pk_add_f32 v[94:95], v[108:109], v[94:95]
	v_pk_mul_f32 v[108:109], v[64:65], s[22:23] op_sel_hi:[1,0]
	v_pk_fma_f32 v[118:119], v[74:75], s[18:19], v[118:119] op_sel:[0,0,1] op_sel_hi:[1,0,0] neg_lo:[0,0,1] neg_hi:[0,0,1]
	v_pk_fma_f32 v[110:111], v[62:63], s[10:11], v[108:109] op_sel:[0,0,1] op_sel_hi:[1,0,0]
	v_pk_fma_f32 v[108:109], v[62:63], s[10:11], v[108:109] op_sel:[0,0,1] op_sel_hi:[1,0,0] neg_lo:[0,0,1] neg_hi:[0,0,1]
	v_mov_b32_e32 v112, v110
	v_mov_b32_e32 v113, v109
	v_pk_add_f32 v[94:95], v[112:113], v[94:95]
	v_pk_mul_f32 v[112:113], v[60:61], s[20:21] op_sel_hi:[1,0]
	v_mov_b32_e32 v122, v120
	v_pk_fma_f32 v[114:115], v[58:59], s[18:19], v[112:113] op_sel:[0,0,1] op_sel_hi:[1,0,0]
	v_pk_fma_f32 v[112:113], v[58:59], s[18:19], v[112:113] op_sel:[0,0,1] op_sel_hi:[1,0,0] neg_lo:[0,0,1] neg_hi:[0,0,1]
	v_mov_b32_e32 v116, v114
	v_mov_b32_e32 v117, v113
	v_pk_add_f32 v[94:95], v[116:117], v[94:95]
	ds_write2_b64 v4, v[88:89], v[94:95] offset0:2 offset1:3
	v_pk_mul_f32 v[88:89], v[86:87], s[16:17] op_sel_hi:[1,0]
	v_mov_b32_e32 v123, v119
	v_pk_fma_f32 v[94:95], v[78:79], s[14:15], v[88:89] op_sel:[0,0,1] op_sel_hi:[1,0,0]
	v_pk_fma_f32 v[88:89], v[78:79], s[14:15], v[88:89] op_sel:[0,0,1] op_sel_hi:[1,0,0] neg_lo:[0,0,1] neg_hi:[0,0,1]
	v_mov_b32_e32 v116, v94
	v_mov_b32_e32 v117, v89
	v_pk_add_f32 v[116:117], v[32:33], v[116:117]
	s_mov_b32 s36, 0x3f52af12
	v_pk_add_f32 v[116:117], v[122:123], v[116:117]
	v_pk_mul_f32 v[122:123], v[72:73], s[34:35] op_sel_hi:[1,0]
	v_pk_mul_f32 v[144:145], v[76:77], s[28:29] op_sel_hi:[1,0]
	v_pk_fma_f32 v[124:125], v[70:71], s[12:13], v[122:123] op_sel:[0,0,1] op_sel_hi:[1,0,0]
	v_pk_fma_f32 v[122:123], v[70:71], s[12:13], v[122:123] op_sel:[0,0,1] op_sel_hi:[1,0,0] neg_lo:[0,0,1] neg_hi:[0,0,1]
	v_mov_b32_e32 v126, v124
	v_mov_b32_e32 v127, v123
	v_pk_add_f32 v[116:117], v[126:127], v[116:117]
	v_pk_mul_f32 v[126:127], v[68:69], s[30:31] op_sel_hi:[1,0]
	s_mov_b32 s30, 0x3e750f2a
	v_pk_fma_f32 v[128:129], v[66:67], s[0:1], v[126:127] op_sel:[0,0,1] op_sel_hi:[1,0,0]
	v_pk_fma_f32 v[126:127], v[66:67], s[0:1], v[126:127] op_sel:[0,0,1] op_sel_hi:[1,0,0] neg_lo:[0,0,1] neg_hi:[0,0,1]
	v_mov_b32_e32 v130, v128
	v_mov_b32_e32 v131, v127
	v_pk_add_f32 v[116:117], v[130:131], v[116:117]
	v_pk_mul_f32 v[130:131], v[64:65], s[30:31] op_sel_hi:[1,0]
	v_pk_fma_f32 v[146:147], v[74:75], s[0:1], v[144:145] op_sel:[0,0,1] op_sel_hi:[1,0,0]
	v_pk_fma_f32 v[132:133], v[62:63], s[24:25], v[130:131] op_sel:[0,0,1] op_sel_hi:[1,0,0]
	v_pk_fma_f32 v[130:131], v[62:63], s[24:25], v[130:131] op_sel:[0,0,1] op_sel_hi:[1,0,0] neg_lo:[0,0,1] neg_hi:[0,0,1]
	v_mov_b32_e32 v134, v132
	v_mov_b32_e32 v135, v131
	v_pk_add_f32 v[116:117], v[134:135], v[116:117]
	v_pk_mul_f32 v[134:135], v[60:61], s[36:37] op_sel_hi:[1,0]
	v_pk_fma_f32 v[144:145], v[74:75], s[0:1], v[144:145] op_sel:[0,0,1] op_sel_hi:[1,0,0] neg_lo:[0,0,1] neg_hi:[0,0,1]
	v_pk_fma_f32 v[136:137], v[58:59], s[10:11], v[134:135] op_sel:[0,0,1] op_sel_hi:[1,0,0]
	v_pk_fma_f32 v[134:135], v[58:59], s[10:11], v[134:135] op_sel:[0,0,1] op_sel_hi:[1,0,0] neg_lo:[0,0,1] neg_hi:[0,0,1]
	v_mov_b32_e32 v138, v136
	v_mov_b32_e32 v139, v135
	v_pk_add_f32 v[116:117], v[138:139], v[116:117]
	v_pk_mul_f32 v[138:139], v[86:87], s[20:21] op_sel_hi:[1,0]
	v_mov_b32_e32 v148, v146
	v_pk_fma_f32 v[140:141], v[78:79], s[18:19], v[138:139] op_sel:[0,0,1] op_sel_hi:[1,0,0]
	v_pk_fma_f32 v[138:139], v[78:79], s[18:19], v[138:139] op_sel:[0,0,1] op_sel_hi:[1,0,0] neg_lo:[0,0,1] neg_hi:[0,0,1]
	v_mov_b32_e32 v142, v140
	v_mov_b32_e32 v143, v139
	v_pk_add_f32 v[142:143], v[32:33], v[142:143]
	v_mov_b32_e32 v149, v145
	v_pk_add_f32 v[142:143], v[148:149], v[142:143]
	v_pk_mul_f32 v[148:149], v[72:73], s[22:23] op_sel_hi:[1,0]
	v_pk_mul_f32 v[86:87], v[86:87], s[26:27] op_sel_hi:[1,0]
	v_pk_fma_f32 v[150:151], v[70:71], s[10:11], v[148:149] op_sel:[0,0,1] op_sel_hi:[1,0,0]
	v_pk_fma_f32 v[148:149], v[70:71], s[10:11], v[148:149] op_sel:[0,0,1] op_sel_hi:[1,0,0] neg_lo:[0,0,1] neg_hi:[0,0,1]
	v_mov_b32_e32 v152, v150
	v_mov_b32_e32 v153, v149
	v_pk_add_f32 v[142:143], v[152:153], v[142:143]
	v_pk_mul_f32 v[152:153], v[68:69], s[30:31] op_sel_hi:[1,0]
	v_pk_mul_f32 v[76:77], v[76:77], s[34:35] op_sel_hi:[1,0]
	v_pk_fma_f32 v[154:155], v[66:67], s[24:25], v[152:153] op_sel:[0,0,1] op_sel_hi:[1,0,0]
	v_pk_fma_f32 v[152:153], v[66:67], s[24:25], v[152:153] op_sel:[0,0,1] op_sel_hi:[1,0,0] neg_lo:[0,0,1] neg_hi:[0,0,1]
	v_mov_b32_e32 v156, v154
	;; [unrolled: 7-line block ×4, first 2 shown]
	v_mov_b32_e32 v165, v161
	v_pk_add_f32 v[142:143], v[164:165], v[142:143]
	ds_write2_b64 v4, v[116:117], v[142:143] offset0:4 offset1:5
	v_pk_fma_f32 v[116:117], v[78:79], s[24:25], v[86:87] op_sel:[0,0,1] op_sel_hi:[1,0,0]
	v_pk_fma_f32 v[78:79], v[78:79], s[24:25], v[86:87] op_sel:[0,0,1] op_sel_hi:[1,0,0] neg_lo:[0,0,1] neg_hi:[0,0,1]
	v_pk_fma_f32 v[86:87], v[74:75], s[12:13], v[76:77] op_sel:[0,0,1] op_sel_hi:[1,0,0]
	v_pk_fma_f32 v[74:75], v[74:75], s[12:13], v[76:77] op_sel:[0,0,1] op_sel_hi:[1,0,0] neg_lo:[0,0,1] neg_hi:[0,0,1]
	v_mov_b32_e32 v76, v116
	v_mov_b32_e32 v77, v79
	v_pk_add_f32 v[76:77], v[32:33], v[76:77]
	v_mov_b32_e32 v142, v86
	v_mov_b32_e32 v143, v75
	v_pk_add_f32 v[76:77], v[142:143], v[76:77]
	v_pk_fma_f32 v[142:143], v[70:71], s[18:19], v[72:73] op_sel:[0,0,1] op_sel_hi:[1,0,0]
	v_pk_fma_f32 v[70:71], v[70:71], s[18:19], v[72:73] op_sel:[0,0,1] op_sel_hi:[1,0,0] neg_lo:[0,0,1] neg_hi:[0,0,1]
	v_mov_b32_e32 v72, v142
	v_mov_b32_e32 v73, v71
	v_pk_add_f32 v[72:73], v[72:73], v[76:77]
	v_pk_fma_f32 v[76:77], v[66:67], s[10:11], v[68:69] op_sel:[0,0,1] op_sel_hi:[1,0,0]
	v_pk_fma_f32 v[66:67], v[66:67], s[10:11], v[68:69] op_sel:[0,0,1] op_sel_hi:[1,0,0] neg_lo:[0,0,1] neg_hi:[0,0,1]
	v_mov_b32_e32 v68, v76
	v_mov_b32_e32 v69, v67
	v_pk_mul_f32 v[64:65], v[64:65], s[16:17] op_sel_hi:[1,0]
	v_pk_add_f32 v[68:69], v[68:69], v[72:73]
	v_pk_fma_f32 v[72:73], v[62:63], s[14:15], v[64:65] op_sel:[0,0,1] op_sel_hi:[1,0,0]
	v_pk_fma_f32 v[62:63], v[62:63], s[14:15], v[64:65] op_sel:[0,0,1] op_sel_hi:[1,0,0] neg_lo:[0,0,1] neg_hi:[0,0,1]
	v_mov_b32_e32 v64, v72
	v_mov_b32_e32 v65, v63
	v_pk_mul_f32 v[60:61], v[60:61], s[28:29] op_sel_hi:[1,0]
	v_pk_add_f32 v[64:65], v[64:65], v[68:69]
	v_pk_fma_f32 v[68:69], v[58:59], s[0:1], v[60:61] op_sel:[0,0,1] op_sel_hi:[1,0,0]
	v_pk_fma_f32 v[58:59], v[58:59], s[0:1], v[60:61] op_sel:[0,0,1] op_sel_hi:[1,0,0] neg_lo:[0,0,1] neg_hi:[0,0,1]
	v_mov_b32_e32 v60, v68
	v_mov_b32_e32 v61, v59
	v_mov_b32_e32 v79, v117
	v_pk_add_f32 v[60:61], v[60:61], v[64:65]
	v_mov_b32_e32 v75, v87
	v_pk_add_f32 v[64:65], v[32:33], v[78:79]
	v_mov_b32_e32 v71, v143
	;; [unrolled: 2-line block ×7, first 2 shown]
	ds_write2_b64 v4, v[60:61], v[58:59] offset0:6 offset1:7
	v_mov_b32_e32 v145, v147
	v_pk_add_f32 v[58:59], v[32:33], v[138:139]
	v_mov_b32_e32 v119, v121
	v_pk_add_f32 v[60:61], v[32:33], v[88:89]
	v_pk_add_f32 v[58:59], v[144:145], v[58:59]
	v_mov_b32_e32 v149, v151
	v_pk_add_f32 v[60:61], v[118:119], v[60:61]
	v_mov_b32_e32 v123, v125
	;; [unrolled: 2-line block ×8, first 2 shown]
	v_pk_add_f32 v[58:59], v[160:161], v[58:59]
	v_pk_add_f32 v[60:61], v[134:135], v[60:61]
	v_mov_b32_e32 v91, v93
	v_mov_b32_e32 v37, v35
	;; [unrolled: 1-line block ×3, first 2 shown]
	ds_write2_b64 v4, v[58:59], v[60:61] offset0:8 offset1:9
	v_mov_b32_e32 v97, v99
	v_pk_add_f32 v[58:59], v[32:33], v[90:91]
	v_pk_add_f32 v[34:35], v[32:33], v[36:37]
	v_mov_b32_e32 v41, v39
	v_pk_add_f32 v[0:1], v[32:33], v[2:3]
	v_mov_b32_e32 v7, v5
	;; [unrolled: 2-line block ×14, first 2 shown]
	v_pk_add_f32 v[58:59], v[112:113], v[58:59]
	v_pk_add_f32 v[34:35], v[56:57], v[34:35]
	;; [unrolled: 1-line block ×3, first 2 shown]
	ds_write2_b64 v4, v[58:59], v[34:35] offset0:10 offset1:11
	ds_write_b64 v4, v[0:1] offset:96
.LBB0_21:
	s_or_b64 exec, exec, s[4:5]
	v_add_u32_e32 v0, -13, v28
	v_cmp_gt_u32_e64 s[0:1], 13, v28
	v_mov_b32_e32 v1, v29
	s_waitcnt lgkmcnt(0)
	v_cndmask_b32_e64 v46, v0, v28, s[0:1]
	v_mul_i32_i24_e32 v0, 9, v46
	v_lshl_add_u64 v[16:17], v[0:1], 3, s[8:9]
	; wave barrier
	global_load_dwordx4 v[0:3], v[16:17], off
	global_load_dwordx4 v[4:7], v[16:17], off offset:16
	global_load_dwordx4 v[8:11], v[16:17], off offset:32
	global_load_dwordx4 v[12:15], v[16:17], off offset:48
	global_load_dwordx2 v[40:41], v[16:17], off offset:64
	ds_read2_b64 v[16:19], v83 offset0:26 offset1:52
	ds_read2_b64 v[20:23], v83 offset0:78 offset1:104
	;; [unrolled: 1-line block ×4, first 2 shown]
	ds_read_b64 v[42:43], v82
	ds_read_b64 v[44:45], v83 offset:1872
	v_mov_b32_e32 v47, 0x410
	v_cmp_lt_u32_e64 s[0:1], 12, v28
	v_lshlrev_b32_e32 v46, 3, v46
	s_mov_b32 s4, 0x3e9e377a
	v_cndmask_b32_e64 v47, 0, v47, s[0:1]
	v_add_u32_e32 v47, 0, v47
	v_add3_u32 v57, v47, v46, v80
	s_mov_b32 s5, 0x3f167918
	s_mov_b32 s10, 0x3f737871
	;; [unrolled: 1-line block ×7, first 2 shown]
	s_waitcnt lgkmcnt(0)
	; wave barrier
	s_waitcnt vmcnt(4) lgkmcnt(0)
	v_pk_mul_f32 v[46:47], v[0:1], v[16:17] op_sel:[0,1]
	v_pk_mul_f32 v[48:49], v[2:3], v[18:19] op_sel:[0,1]
	s_waitcnt vmcnt(3)
	v_pk_mul_f32 v[50:51], v[4:5], v[20:21] op_sel:[0,1]
	v_pk_mul_f32 v[52:53], v[6:7], v[22:23] op_sel:[0,1]
	s_waitcnt vmcnt(2)
	v_pk_mul_f32 v[54:55], v[8:9], v[32:33] op_sel:[0,1]
	v_mov_b32_e32 v56, v11
	s_waitcnt vmcnt(1)
	v_pk_mul_f32 v[58:59], v[36:37], v[12:13] op_sel:[0,1]
	s_waitcnt vmcnt(0)
	v_pk_mul_f32 v[62:63], v[44:45], v[40:41] op_sel:[0,1]
	v_pk_fma_f32 v[64:65], v[0:1], v[16:17], v[46:47] op_sel:[0,0,1] op_sel_hi:[1,0,0]
	v_pk_fma_f32 v[0:1], v[0:1], v[16:17], v[46:47] op_sel:[0,0,1] op_sel_hi:[1,0,0] neg_lo:[1,0,0] neg_hi:[1,0,0]
	v_pk_fma_f32 v[16:17], v[2:3], v[18:19], v[48:49] op_sel:[0,0,1] op_sel_hi:[1,1,0]
	v_pk_fma_f32 v[2:3], v[2:3], v[18:19], v[48:49] op_sel:[0,0,1] op_sel_hi:[1,0,0] neg_lo:[1,0,0] neg_hi:[1,0,0]
	;; [unrolled: 2-line block ×5, first 2 shown]
	v_pk_mul_f32 v[32:33], v[34:35], v[56:57] op_sel_hi:[1,0]
	v_pk_fma_f32 v[46:47], v[36:37], v[12:13], v[58:59] op_sel:[0,0,1] op_sel_hi:[1,1,0]
	v_pk_fma_f32 v[48:49], v[44:45], v[40:41], v[62:63] op_sel:[0,0,1] op_sel_hi:[1,1,0]
	v_mov_b32_e32 v60, v15
	v_mov_b32_e32 v17, v3
	;; [unrolled: 1-line block ×3, first 2 shown]
	v_pk_fma_f32 v[2:3], v[34:35], v[10:11], v[32:33] op_sel:[0,0,1] op_sel_hi:[1,1,0]
	v_pk_fma_f32 v[6:7], v[34:35], v[10:11], v[32:33] op_sel:[0,0,1] op_sel_hi:[1,0,0] neg_lo:[0,0,1] neg_hi:[0,0,1]
	v_mov_b32_e32 v32, v18
	v_mov_b32_e32 v33, v48
	v_mov_b32_e32 v34, v22
	v_mov_b32_e32 v35, v46
	v_pk_fma_f32 v[12:13], v[36:37], v[12:13], v[58:59] op_sel:[0,0,1] op_sel_hi:[1,0,0] neg_lo:[0,0,1] neg_hi:[0,0,1]
	v_pk_mul_f32 v[36:37], v[38:39], v[60:61] op_sel_hi:[1,0]
	v_pk_fma_f32 v[40:41], v[44:45], v[40:41], v[62:63] op_sel:[0,0,1] op_sel_hi:[1,0,0] neg_lo:[0,0,1] neg_hi:[0,0,1]
	v_pk_add_f32 v[44:45], v[32:33], v[34:35] neg_lo:[0,1] neg_hi:[0,1]
	v_mov_b32_e32 v23, v9
	v_mov_b32_e32 v47, v13
	v_pk_fma_f32 v[10:11], v[38:39], v[14:15], v[36:37] op_sel:[0,0,1] op_sel_hi:[1,1,0]
	v_pk_fma_f32 v[14:15], v[38:39], v[14:15], v[36:37] op_sel:[0,0,1] op_sel_hi:[1,0,0] neg_lo:[0,0,1] neg_hi:[0,0,1]
	v_mov_b32_e32 v0, v45
	v_mov_b32_e32 v19, v5
	;; [unrolled: 1-line block ×4, first 2 shown]
	v_pk_add_f32 v[14:15], v[22:23], v[46:47]
	v_pk_add_f32 v[38:39], v[22:23], v[46:47] neg_lo:[0,1] neg_hi:[0,1]
	v_pk_add_f32 v[32:33], v[34:35], v[32:33] neg_lo:[0,1] neg_hi:[0,1]
	v_pk_add_f32 v[34:35], v[44:45], v[0:1]
	v_pk_add_f32 v[36:37], v[18:19], v[48:49] neg_lo:[0,1] neg_hi:[0,1]
	v_fma_f32 v4, -0.5, v14, v64
	v_mov_b32_e32 v35, v39
	v_fmamk_f32 v8, v37, 0xbf737871, v4
	v_pk_mul_f32 v[34:35], v[34:35], s[4:5]
	v_mov_b32_e32 v12, v64
	v_sub_f32_e32 v0, v8, v35
	v_mov_b32_e32 v8, v33
	v_pk_add_f32 v[50:51], v[18:19], v[48:49]
	v_pk_add_f32 v[32:33], v[32:33], v[8:9]
	v_fmac_f32_e32 v12, -0.5, v50
	v_mov_b32_e32 v33, v37
	v_fmamk_f32 v14, v39, 0x3f737871, v12
	v_pk_mul_f32 v[32:33], v[32:33], s[4:5]
	v_fmac_f32_e32 v12, 0xbf737871, v39
	v_mov_b32_e32 v65, v1
	v_add_f32_e32 v12, v33, v12
	v_sub_f32_e32 v8, v14, v33
	v_add_f32_e32 v14, v32, v12
	v_pk_add_f32 v[18:19], v[64:65], v[18:19]
	v_mov_b32_e32 v40, v5
	v_mov_b32_e32 v12, v9
	v_pk_add_f32 v[18:19], v[18:19], v[22:23]
	v_fma_f32 v15, -0.5, v15, v1
	v_pk_add_f32 v[22:23], v[40:41], v[12:13] neg_lo:[0,1] neg_hi:[0,1]
	v_add_f32_e32 v8, v32, v8
	v_fmamk_f32 v33, v36, 0x3f737871, v15
	v_mov_b32_e32 v32, v23
	v_pk_add_f32 v[22:23], v[22:23], v[32:33]
	v_fmac_f32_e32 v4, 0x3f737871, v37
	v_mov_b32_e32 v23, v38
	v_pk_mul_f32 v[22:23], v[22:23], s[4:5]
	v_add_f32_e32 v4, v35, v4
	v_add_f32_e32 v5, v23, v33
	v_fmac_f32_e32 v15, 0xbf737871, v36
	v_pk_add_f32 v[12:13], v[12:13], v[40:41] neg_lo:[0,1] neg_hi:[0,1]
	v_mov_b32_e32 v3, v7
	v_add_f32_e32 v0, v34, v0
	v_add_f32_e32 v4, v34, v4
	;; [unrolled: 1-line block ×3, first 2 shown]
	v_sub_f32_e32 v5, v15, v23
	v_fmac_f32_e32 v1, -0.5, v51
	v_mov_b32_e32 v34, v13
	v_add_f32_e32 v22, v22, v5
	v_fmamk_f32 v5, v38, 0xbf737871, v1
	v_pk_add_f32 v[12:13], v[12:13], v[34:35]
	v_fmac_f32_e32 v1, 0x3f737871, v38
	v_pk_add_f32 v[38:39], v[20:21], v[2:3]
	v_pk_add_f32 v[40:41], v[16:17], v[10:11] neg_lo:[0,1] neg_hi:[0,1]
	v_pk_add_f32 v[18:19], v[18:19], v[46:47]
	v_mov_b32_e32 v13, v36
	v_pk_fma_f32 v[38:39], v[38:39], 0.5, v[42:43] op_sel_hi:[1,0,1] neg_lo:[1,0,0] neg_hi:[1,0,0]
	v_pk_mul_f32 v[44:45], v[40:41], s[10:11] op_sel_hi:[1,0]
	v_pk_add_f32 v[46:47], v[20:21], v[2:3] neg_lo:[0,1] neg_hi:[0,1]
	v_pk_add_f32 v[50:51], v[16:17], v[20:21] neg_lo:[0,1] neg_hi:[0,1]
	;; [unrolled: 1-line block ×3, first 2 shown]
	v_pk_add_f32 v[6:7], v[42:43], v[16:17]
	v_pk_add_f32 v[18:19], v[18:19], v[48:49]
	v_pk_mul_f32 v[12:13], v[12:13], s[4:5]
	v_pk_mul_f32 v[48:49], v[46:47], s[0:1] op_sel_hi:[1,0]
	v_pk_add_f32 v[50:51], v[50:51], v[52:53]
	v_pk_add_f32 v[52:53], v[38:39], v[44:45] op_sel:[0,1] op_sel_hi:[1,0] neg_lo:[0,1] neg_hi:[0,1]
	v_pk_add_f32 v[38:39], v[38:39], v[44:45] op_sel:[0,1] op_sel_hi:[1,0]
	v_pk_add_f32 v[6:7], v[6:7], v[20:21]
	v_add_f32_e32 v5, v13, v5
	v_sub_f32_e32 v1, v1, v13
	v_pk_add_f32 v[38:39], v[38:39], v[48:49] op_sel:[0,1] op_sel_hi:[1,0]
	v_pk_add_f32 v[44:45], v[52:53], v[48:49] op_sel:[0,1] op_sel_hi:[1,0] neg_lo:[0,1] neg_hi:[0,1]
	v_pk_mul_f32 v[32:33], v[32:33], s[14:15] op_sel_hi:[0,1]
	v_pk_add_f32 v[6:7], v[6:7], v[2:3]
	v_add_f32_e32 v34, v12, v5
	v_add_f32_e32 v12, v12, v1
	v_mov_b32_e32 v48, v44
	v_mov_b32_e32 v49, v39
	v_pk_fma_f32 v[52:53], v[0:1], s[12:13], v[32:33] neg_lo:[0,0,1] neg_hi:[0,0,1]
	v_pk_fma_f32 v[0:1], v[0:1], s[12:13], v[32:33] op_sel_hi:[0,1,1]
	v_pk_add_f32 v[6:7], v[6:7], v[10:11]
	v_pk_fma_f32 v[48:49], v[50:51], s[4:5], v[48:49] op_sel_hi:[1,0,1]
	v_mov_b32_e32 v53, v1
	v_pk_add_f32 v[36:37], v[6:7], v[18:19]
	v_pk_add_f32 v[0:1], v[48:49], v[52:53]
	s_mov_b32 s11, s4
	ds_write2_b64 v57, v[36:37], v[0:1] offset1:13
	v_pk_add_f32 v[0:1], v[16:17], v[10:11]
	v_pk_add_f32 v[16:17], v[20:21], v[16:17] neg_lo:[0,1] neg_hi:[0,1]
	v_pk_add_f32 v[2:3], v[2:3], v[10:11] neg_lo:[0,1] neg_hi:[0,1]
	s_mov_b32 s12, s4
	s_mov_b32 s13, s10
	v_pk_mul_f32 v[10:11], v[34:35], s[10:11] op_sel_hi:[0,1]
	v_pk_add_f32 v[2:3], v[16:17], v[2:3]
	v_pk_fma_f32 v[16:17], v[8:9], s[12:13], v[10:11] neg_lo:[0,0,1] neg_hi:[0,0,1]
	v_pk_fma_f32 v[8:9], v[8:9], s[12:13], v[10:11] op_sel_hi:[0,1,1]
	v_pk_fma_f32 v[0:1], v[0:1], 0.5, v[42:43] op_sel_hi:[1,0,1] neg_lo:[1,0,0] neg_hi:[1,0,0]
	v_mov_b32_e32 v17, v9
	v_pk_mul_f32 v[8:9], v[46:47], s[10:11] op_sel_hi:[1,0]
	v_pk_mul_f32 v[10:11], v[40:41], s[0:1] op_sel_hi:[1,0]
	v_pk_add_f32 v[20:21], v[0:1], v[8:9] op_sel:[0,1] op_sel_hi:[1,0]
	v_pk_add_f32 v[0:1], v[0:1], v[8:9] op_sel:[0,1] op_sel_hi:[1,0] neg_lo:[0,1] neg_hi:[0,1]
	v_pk_add_f32 v[8:9], v[20:21], v[10:11] op_sel:[0,1] op_sel_hi:[1,0] neg_lo:[0,1] neg_hi:[0,1]
	v_pk_add_f32 v[0:1], v[0:1], v[10:11] op_sel:[0,1] op_sel_hi:[1,0]
	v_mov_b32_e32 v10, v8
	v_mov_b32_e32 v11, v1
	s_mov_b32 s0, 0xbe9e377a
	s_mov_b32 s1, s10
	v_pk_mul_f32 v[12:13], v[12:13], s[10:11] op_sel_hi:[0,1]
	v_mov_b32_e32 v1, v9
	v_pk_fma_f32 v[10:11], v[2:3], s[4:5], v[10:11] op_sel_hi:[1,0,1]
	v_pk_fma_f32 v[12:13], v[14:15], s[0:1], v[12:13] op_sel_hi:[0,1,1] neg_lo:[0,0,1] neg_hi:[0,0,1]
	v_pk_fma_f32 v[0:1], v[2:3], s[4:5], v[0:1] op_sel_hi:[1,0,1]
	v_pk_add_f32 v[20:21], v[10:11], v[16:17]
	v_pk_add_f32 v[2:3], v[0:1], v[12:13]
	ds_write2_b64 v57, v[20:21], v[2:3] offset0:26 offset1:39
	s_mov_b32 s0, 0xbf4f1bbd
	s_mov_b32 s1, s5
	v_pk_mul_f32 v[2:3], v[22:23], s[14:15] op_sel_hi:[0,1]
	v_mov_b32_e32 v39, v45
	v_pk_fma_f32 v[2:3], v[4:5], s[0:1], v[2:3] op_sel_hi:[0,1,1] neg_lo:[0,0,1] neg_hi:[0,0,1]
	v_pk_fma_f32 v[4:5], v[50:51], s[4:5], v[38:39] op_sel_hi:[1,0,1]
	v_pk_add_f32 v[6:7], v[6:7], v[18:19] neg_lo:[0,1] neg_hi:[0,1]
	v_pk_add_f32 v[8:9], v[4:5], v[2:3]
	ds_write2_b64 v57, v[8:9], v[6:7] offset0:52 offset1:65
	v_pk_add_f32 v[6:7], v[48:49], v[52:53] neg_lo:[0,1] neg_hi:[0,1]
	v_pk_add_f32 v[8:9], v[10:11], v[16:17] neg_lo:[0,1] neg_hi:[0,1]
	;; [unrolled: 1-line block ×4, first 2 shown]
	ds_write2_b64 v57, v[6:7], v[8:9] offset0:78 offset1:91
	ds_write2_b64 v57, v[0:1], v[2:3] offset0:104 offset1:117
	s_waitcnt lgkmcnt(0)
	; wave barrier
	s_waitcnt lgkmcnt(0)
	global_load_dwordx2 v[16:17], v[30:31], off offset:936
	v_lshl_add_u64 v[0:1], v[28:29], 3, s[8:9]
	global_load_dwordx2 v[18:19], v[0:1], off offset:1144
	global_load_dwordx2 v[20:21], v[0:1], off offset:1352
	;; [unrolled: 1-line block ×4, first 2 shown]
	ds_read2_b64 v[0:3], v83 offset0:130 offset1:156
	ds_read2_b64 v[4:7], v83 offset0:26 offset1:52
	;; [unrolled: 1-line block ×4, first 2 shown]
	ds_read_b64 v[32:33], v82
	ds_read_b64 v[34:35], v83 offset:1872
	v_add_u32_e32 v29, v84, v80
	s_waitcnt lgkmcnt(0)
	; wave barrier
	s_waitcnt vmcnt(4) lgkmcnt(0)
	v_pk_mul_f32 v[36:37], v[16:17], v[0:1] op_sel:[0,1]
	s_nop 0
	v_pk_fma_f32 v[38:39], v[16:17], v[0:1], v[36:37] op_sel:[0,0,1] op_sel_hi:[1,1,0]
	v_pk_fma_f32 v[0:1], v[16:17], v[0:1], v[36:37] op_sel:[0,0,1] op_sel_hi:[1,0,0] neg_lo:[1,0,0] neg_hi:[1,0,0]
	s_nop 0
	v_mov_b32_e32 v39, v1
	v_pk_add_f32 v[0:1], v[32:33], v[38:39] neg_lo:[0,1] neg_hi:[0,1]
	s_nop 0
	v_pk_fma_f32 v[16:17], v[32:33], 2.0, v[0:1] op_sel_hi:[1,0,1] neg_lo:[0,0,1] neg_hi:[0,0,1]
	s_waitcnt vmcnt(3)
	v_pk_mul_f32 v[32:33], v[18:19], v[2:3] op_sel:[0,1]
	s_nop 0
	v_pk_fma_f32 v[36:37], v[18:19], v[2:3], v[32:33] op_sel:[0,0,1] op_sel_hi:[1,1,0]
	v_pk_fma_f32 v[2:3], v[18:19], v[2:3], v[32:33] op_sel:[0,0,1] op_sel_hi:[1,0,0] neg_lo:[1,0,0] neg_hi:[1,0,0]
	s_waitcnt vmcnt(2)
	v_pk_mul_f32 v[18:19], v[20:21], v[8:9] op_sel:[0,1]
	v_mov_b32_e32 v37, v3
	v_pk_fma_f32 v[32:33], v[20:21], v[8:9], v[18:19] op_sel:[0,0,1] op_sel_hi:[1,1,0]
	v_pk_fma_f32 v[8:9], v[20:21], v[8:9], v[18:19] op_sel:[0,0,1] op_sel_hi:[1,0,0] neg_lo:[1,0,0] neg_hi:[1,0,0]
	s_waitcnt vmcnt(1)
	v_pk_mul_f32 v[18:19], v[22:23], v[10:11] op_sel:[0,1]
	v_pk_add_f32 v[2:3], v[4:5], v[36:37] neg_lo:[0,1] neg_hi:[0,1]
	v_pk_fma_f32 v[20:21], v[22:23], v[10:11], v[18:19] op_sel:[0,0,1] op_sel_hi:[1,1,0]
	v_pk_fma_f32 v[10:11], v[22:23], v[10:11], v[18:19] op_sel:[0,0,1] op_sel_hi:[1,0,0] neg_lo:[1,0,0] neg_hi:[1,0,0]
	s_waitcnt vmcnt(0)
	v_pk_mul_f32 v[18:19], v[30:31], v[34:35] op_sel:[0,1]
	v_mov_b32_e32 v21, v11
	v_pk_add_f32 v[10:11], v[12:13], v[20:21] neg_lo:[0,1] neg_hi:[0,1]
	v_pk_fma_f32 v[20:21], v[30:31], v[34:35], v[18:19] op_sel:[0,0,1] op_sel_hi:[1,1,0]
	v_pk_fma_f32 v[18:19], v[30:31], v[34:35], v[18:19] op_sel:[0,0,1] op_sel_hi:[1,0,0] neg_lo:[1,0,0] neg_hi:[1,0,0]
	v_mov_b32_e32 v33, v9
	v_mov_b32_e32 v21, v19
	v_pk_fma_f32 v[4:5], v[4:5], 2.0, v[2:3] op_sel_hi:[1,0,1] neg_lo:[0,0,1] neg_hi:[0,0,1]
	v_pk_add_f32 v[8:9], v[6:7], v[32:33] neg_lo:[0,1] neg_hi:[0,1]
	v_pk_add_f32 v[18:19], v[14:15], v[20:21] neg_lo:[0,1] neg_hi:[0,1]
	v_pk_fma_f32 v[6:7], v[6:7], 2.0, v[8:9] op_sel_hi:[1,0,1] neg_lo:[0,0,1] neg_hi:[0,0,1]
	v_pk_fma_f32 v[12:13], v[12:13], 2.0, v[10:11] op_sel_hi:[1,0,1] neg_lo:[0,0,1] neg_hi:[0,0,1]
	;; [unrolled: 1-line block ×3, first 2 shown]
	ds_write2_b64 v83, v[16:17], v[4:5] offset1:26
	ds_write2_b64 v29, v[2:3], v[8:9] offset0:156 offset1:182
	ds_write2_b64 v83, v[6:7], v[12:13] offset0:52 offset1:78
	;; [unrolled: 1-line block ×4, first 2 shown]
	s_waitcnt lgkmcnt(0)
	; wave barrier
	s_waitcnt lgkmcnt(0)
	s_and_saveexec_b64 s[0:1], vcc
	s_cbranch_execz .LBB0_23
; %bb.22:
	v_mul_lo_u32 v0, s3, v26
	v_mul_lo_u32 v1, s2, v27
	v_mad_u64_u32 v[4:5], s[0:1], s2, v26, 0
	v_lshl_add_u32 v10, v28, 3, v81
	v_add3_u32 v5, v5, v1, v0
	ds_read2_b64 v[0:3], v10 offset1:26
	v_lshl_add_u64 v[4:5], v[4:5], 3, s[6:7]
	v_mov_b32_e32 v29, 0
	v_lshl_add_u64 v[8:9], v[24:25], 3, v[4:5]
	v_lshl_add_u64 v[4:5], v[28:29], 3, v[8:9]
	s_waitcnt lgkmcnt(0)
	global_store_dwordx2 v[4:5], v[0:1], off
	ds_read2_b64 v[4:7], v10 offset0:52 offset1:78
	v_add_u32_e32 v0, 26, v28
	v_mov_b32_e32 v1, v29
	v_lshl_add_u64 v[0:1], v[0:1], 3, v[8:9]
	global_store_dwordx2 v[0:1], v[2:3], off
	v_add_u32_e32 v0, 52, v28
	v_mov_b32_e32 v1, v29
	v_lshl_add_u64 v[0:1], v[0:1], 3, v[8:9]
	s_waitcnt lgkmcnt(0)
	global_store_dwordx2 v[0:1], v[4:5], off
	v_add_u32_e32 v0, 0x4e, v28
	v_mov_b32_e32 v1, v29
	v_lshl_add_u64 v[4:5], v[0:1], 3, v[8:9]
	ds_read2_b64 v[0:3], v10 offset0:104 offset1:130
	global_store_dwordx2 v[4:5], v[6:7], off
	v_add_u32_e32 v4, 0x68, v28
	v_mov_b32_e32 v5, v29
	v_lshl_add_u64 v[4:5], v[4:5], 3, v[8:9]
	s_waitcnt lgkmcnt(0)
	global_store_dwordx2 v[4:5], v[0:1], off
	ds_read2_b64 v[4:7], v10 offset0:156 offset1:182
	v_add_u32_e32 v0, 0x82, v28
	v_mov_b32_e32 v1, v29
	v_lshl_add_u64 v[0:1], v[0:1], 3, v[8:9]
	global_store_dwordx2 v[0:1], v[2:3], off
	v_add_u32_e32 v0, 0x9c, v28
	v_mov_b32_e32 v1, v29
	v_lshl_add_u64 v[0:1], v[0:1], 3, v[8:9]
	s_waitcnt lgkmcnt(0)
	global_store_dwordx2 v[0:1], v[4:5], off
	v_add_u32_e32 v0, 0xb6, v28
	v_mov_b32_e32 v1, v29
	v_lshl_add_u64 v[4:5], v[0:1], 3, v[8:9]
	ds_read2_b64 v[0:3], v10 offset0:208 offset1:234
	global_store_dwordx2 v[4:5], v[6:7], off
	v_add_u32_e32 v4, 0xd0, v28
	v_mov_b32_e32 v5, v29
	v_lshl_add_u64 v[4:5], v[4:5], 3, v[8:9]
	v_add_u32_e32 v28, 0xea, v28
	s_waitcnt lgkmcnt(0)
	global_store_dwordx2 v[4:5], v[0:1], off
	v_lshl_add_u64 v[0:1], v[28:29], 3, v[8:9]
	global_store_dwordx2 v[0:1], v[2:3], off
.LBB0_23:
	s_endpgm
	.section	.rodata,"a",@progbits
	.p2align	6, 0x0
	.amdhsa_kernel fft_rtc_back_len260_factors_13_10_2_wgs_52_tpt_26_sp_op_CI_CI_unitstride_sbrr_C2R_dirReg
		.amdhsa_group_segment_fixed_size 0
		.amdhsa_private_segment_fixed_size 0
		.amdhsa_kernarg_size 104
		.amdhsa_user_sgpr_count 2
		.amdhsa_user_sgpr_dispatch_ptr 0
		.amdhsa_user_sgpr_queue_ptr 0
		.amdhsa_user_sgpr_kernarg_segment_ptr 1
		.amdhsa_user_sgpr_dispatch_id 0
		.amdhsa_user_sgpr_kernarg_preload_length 0
		.amdhsa_user_sgpr_kernarg_preload_offset 0
		.amdhsa_user_sgpr_private_segment_size 0
		.amdhsa_uses_dynamic_stack 0
		.amdhsa_enable_private_segment 0
		.amdhsa_system_sgpr_workgroup_id_x 1
		.amdhsa_system_sgpr_workgroup_id_y 0
		.amdhsa_system_sgpr_workgroup_id_z 0
		.amdhsa_system_sgpr_workgroup_info 0
		.amdhsa_system_vgpr_workitem_id 0
		.amdhsa_next_free_vgpr 166
		.amdhsa_next_free_sgpr 40
		.amdhsa_accum_offset 168
		.amdhsa_reserve_vcc 1
		.amdhsa_float_round_mode_32 0
		.amdhsa_float_round_mode_16_64 0
		.amdhsa_float_denorm_mode_32 3
		.amdhsa_float_denorm_mode_16_64 3
		.amdhsa_dx10_clamp 1
		.amdhsa_ieee_mode 1
		.amdhsa_fp16_overflow 0
		.amdhsa_tg_split 0
		.amdhsa_exception_fp_ieee_invalid_op 0
		.amdhsa_exception_fp_denorm_src 0
		.amdhsa_exception_fp_ieee_div_zero 0
		.amdhsa_exception_fp_ieee_overflow 0
		.amdhsa_exception_fp_ieee_underflow 0
		.amdhsa_exception_fp_ieee_inexact 0
		.amdhsa_exception_int_div_zero 0
	.end_amdhsa_kernel
	.text
.Lfunc_end0:
	.size	fft_rtc_back_len260_factors_13_10_2_wgs_52_tpt_26_sp_op_CI_CI_unitstride_sbrr_C2R_dirReg, .Lfunc_end0-fft_rtc_back_len260_factors_13_10_2_wgs_52_tpt_26_sp_op_CI_CI_unitstride_sbrr_C2R_dirReg
                                        ; -- End function
	.section	.AMDGPU.csdata,"",@progbits
; Kernel info:
; codeLenInByte = 7052
; NumSgprs: 46
; NumVgprs: 166
; NumAgprs: 0
; TotalNumVgprs: 166
; ScratchSize: 0
; MemoryBound: 0
; FloatMode: 240
; IeeeMode: 1
; LDSByteSize: 0 bytes/workgroup (compile time only)
; SGPRBlocks: 5
; VGPRBlocks: 20
; NumSGPRsForWavesPerEU: 46
; NumVGPRsForWavesPerEU: 166
; AccumOffset: 168
; Occupancy: 3
; WaveLimiterHint : 1
; COMPUTE_PGM_RSRC2:SCRATCH_EN: 0
; COMPUTE_PGM_RSRC2:USER_SGPR: 2
; COMPUTE_PGM_RSRC2:TRAP_HANDLER: 0
; COMPUTE_PGM_RSRC2:TGID_X_EN: 1
; COMPUTE_PGM_RSRC2:TGID_Y_EN: 0
; COMPUTE_PGM_RSRC2:TGID_Z_EN: 0
; COMPUTE_PGM_RSRC2:TIDIG_COMP_CNT: 0
; COMPUTE_PGM_RSRC3_GFX90A:ACCUM_OFFSET: 41
; COMPUTE_PGM_RSRC3_GFX90A:TG_SPLIT: 0
	.text
	.p2alignl 6, 3212836864
	.fill 256, 4, 3212836864
	.type	__hip_cuid_5d9b0e2e4b2293ce,@object ; @__hip_cuid_5d9b0e2e4b2293ce
	.section	.bss,"aw",@nobits
	.globl	__hip_cuid_5d9b0e2e4b2293ce
__hip_cuid_5d9b0e2e4b2293ce:
	.byte	0                               ; 0x0
	.size	__hip_cuid_5d9b0e2e4b2293ce, 1

	.ident	"AMD clang version 19.0.0git (https://github.com/RadeonOpenCompute/llvm-project roc-6.4.0 25133 c7fe45cf4b819c5991fe208aaa96edf142730f1d)"
	.section	".note.GNU-stack","",@progbits
	.addrsig
	.addrsig_sym __hip_cuid_5d9b0e2e4b2293ce
	.amdgpu_metadata
---
amdhsa.kernels:
  - .agpr_count:     0
    .args:
      - .actual_access:  read_only
        .address_space:  global
        .offset:         0
        .size:           8
        .value_kind:     global_buffer
      - .offset:         8
        .size:           8
        .value_kind:     by_value
      - .actual_access:  read_only
        .address_space:  global
        .offset:         16
        .size:           8
        .value_kind:     global_buffer
      - .actual_access:  read_only
        .address_space:  global
        .offset:         24
        .size:           8
        .value_kind:     global_buffer
      - .actual_access:  read_only
        .address_space:  global
        .offset:         32
        .size:           8
        .value_kind:     global_buffer
      - .offset:         40
        .size:           8
        .value_kind:     by_value
      - .actual_access:  read_only
        .address_space:  global
        .offset:         48
        .size:           8
        .value_kind:     global_buffer
      - .actual_access:  read_only
        .address_space:  global
        .offset:         56
        .size:           8
        .value_kind:     global_buffer
      - .offset:         64
        .size:           4
        .value_kind:     by_value
      - .actual_access:  read_only
        .address_space:  global
        .offset:         72
        .size:           8
        .value_kind:     global_buffer
      - .actual_access:  read_only
        .address_space:  global
        .offset:         80
        .size:           8
        .value_kind:     global_buffer
      - .actual_access:  read_only
        .address_space:  global
        .offset:         88
        .size:           8
        .value_kind:     global_buffer
      - .actual_access:  write_only
        .address_space:  global
        .offset:         96
        .size:           8
        .value_kind:     global_buffer
    .group_segment_fixed_size: 0
    .kernarg_segment_align: 8
    .kernarg_segment_size: 104
    .language:       OpenCL C
    .language_version:
      - 2
      - 0
    .max_flat_workgroup_size: 52
    .name:           fft_rtc_back_len260_factors_13_10_2_wgs_52_tpt_26_sp_op_CI_CI_unitstride_sbrr_C2R_dirReg
    .private_segment_fixed_size: 0
    .sgpr_count:     46
    .sgpr_spill_count: 0
    .symbol:         fft_rtc_back_len260_factors_13_10_2_wgs_52_tpt_26_sp_op_CI_CI_unitstride_sbrr_C2R_dirReg.kd
    .uniform_work_group_size: 1
    .uses_dynamic_stack: false
    .vgpr_count:     166
    .vgpr_spill_count: 0
    .wavefront_size: 64
amdhsa.target:   amdgcn-amd-amdhsa--gfx950
amdhsa.version:
  - 1
  - 2
...

	.end_amdgpu_metadata
